;; amdgpu-corpus repo=ROCm/rocFFT kind=compiled arch=gfx1100 opt=O3
	.text
	.amdgcn_target "amdgcn-amd-amdhsa--gfx1100"
	.amdhsa_code_object_version 6
	.protected	fft_rtc_fwd_len576_factors_16_6_6_wgs_96_tpt_96_halfLds_dp_ip_CI_unitstride_sbrr_R2C_dirReg ; -- Begin function fft_rtc_fwd_len576_factors_16_6_6_wgs_96_tpt_96_halfLds_dp_ip_CI_unitstride_sbrr_R2C_dirReg
	.globl	fft_rtc_fwd_len576_factors_16_6_6_wgs_96_tpt_96_halfLds_dp_ip_CI_unitstride_sbrr_R2C_dirReg
	.p2align	8
	.type	fft_rtc_fwd_len576_factors_16_6_6_wgs_96_tpt_96_halfLds_dp_ip_CI_unitstride_sbrr_R2C_dirReg,@function
fft_rtc_fwd_len576_factors_16_6_6_wgs_96_tpt_96_halfLds_dp_ip_CI_unitstride_sbrr_R2C_dirReg: ; @fft_rtc_fwd_len576_factors_16_6_6_wgs_96_tpt_96_halfLds_dp_ip_CI_unitstride_sbrr_R2C_dirReg
; %bb.0:
	s_clause 0x2
	s_load_b128 s[4:7], s[0:1], 0x0
	s_load_b64 s[8:9], s[0:1], 0x50
	s_load_b64 s[10:11], s[0:1], 0x18
	v_mul_u32_u24_e32 v1, 0x2ab, v0
	v_mov_b32_e32 v3, 0
	v_mov_b32_e32 v4, 0
	s_delay_alu instid0(VALU_DEP_3) | instskip(SKIP_1) | instid1(VALU_DEP_1)
	v_lshrrev_b32_e32 v2, 16, v1
	v_mov_b32_e32 v1, 0
	v_dual_mov_b32 v6, v1 :: v_dual_add_nc_u32 v5, s15, v2
	s_waitcnt lgkmcnt(0)
	v_cmp_lt_u64_e64 s2, s[6:7], 2
	s_delay_alu instid0(VALU_DEP_1)
	s_and_b32 vcc_lo, exec_lo, s2
	s_cbranch_vccnz .LBB0_8
; %bb.1:
	s_load_b64 s[2:3], s[0:1], 0x10
	v_mov_b32_e32 v3, 0
	s_add_u32 s12, s10, 8
	v_mov_b32_e32 v4, 0
	s_addc_u32 s13, s11, 0
	s_mov_b64 s[16:17], 1
	s_waitcnt lgkmcnt(0)
	s_add_u32 s14, s2, 8
	s_addc_u32 s15, s3, 0
.LBB0_2:                                ; =>This Inner Loop Header: Depth=1
	s_load_b64 s[18:19], s[14:15], 0x0
                                        ; implicit-def: $vgpr7_vgpr8
	s_mov_b32 s2, exec_lo
	s_waitcnt lgkmcnt(0)
	v_or_b32_e32 v2, s19, v6
	s_delay_alu instid0(VALU_DEP_1)
	v_cmpx_ne_u64_e32 0, v[1:2]
	s_xor_b32 s3, exec_lo, s2
	s_cbranch_execz .LBB0_4
; %bb.3:                                ;   in Loop: Header=BB0_2 Depth=1
	v_cvt_f32_u32_e32 v2, s18
	v_cvt_f32_u32_e32 v7, s19
	s_sub_u32 s2, 0, s18
	s_subb_u32 s20, 0, s19
	s_delay_alu instid0(VALU_DEP_1) | instskip(NEXT) | instid1(VALU_DEP_1)
	v_fmac_f32_e32 v2, 0x4f800000, v7
	v_rcp_f32_e32 v2, v2
	s_waitcnt_depctr 0xfff
	v_mul_f32_e32 v2, 0x5f7ffffc, v2
	s_delay_alu instid0(VALU_DEP_1) | instskip(NEXT) | instid1(VALU_DEP_1)
	v_mul_f32_e32 v7, 0x2f800000, v2
	v_trunc_f32_e32 v7, v7
	s_delay_alu instid0(VALU_DEP_1) | instskip(SKIP_1) | instid1(VALU_DEP_2)
	v_fmac_f32_e32 v2, 0xcf800000, v7
	v_cvt_u32_f32_e32 v7, v7
	v_cvt_u32_f32_e32 v2, v2
	s_delay_alu instid0(VALU_DEP_2) | instskip(NEXT) | instid1(VALU_DEP_2)
	v_mul_lo_u32 v8, s2, v7
	v_mul_hi_u32 v9, s2, v2
	v_mul_lo_u32 v10, s20, v2
	s_delay_alu instid0(VALU_DEP_2) | instskip(SKIP_1) | instid1(VALU_DEP_2)
	v_add_nc_u32_e32 v8, v9, v8
	v_mul_lo_u32 v9, s2, v2
	v_add_nc_u32_e32 v8, v8, v10
	s_delay_alu instid0(VALU_DEP_2) | instskip(NEXT) | instid1(VALU_DEP_2)
	v_mul_hi_u32 v10, v2, v9
	v_mul_lo_u32 v11, v2, v8
	v_mul_hi_u32 v12, v2, v8
	v_mul_hi_u32 v13, v7, v9
	v_mul_lo_u32 v9, v7, v9
	v_mul_hi_u32 v14, v7, v8
	v_mul_lo_u32 v8, v7, v8
	v_add_co_u32 v10, vcc_lo, v10, v11
	v_add_co_ci_u32_e32 v11, vcc_lo, 0, v12, vcc_lo
	s_delay_alu instid0(VALU_DEP_2) | instskip(NEXT) | instid1(VALU_DEP_2)
	v_add_co_u32 v9, vcc_lo, v10, v9
	v_add_co_ci_u32_e32 v9, vcc_lo, v11, v13, vcc_lo
	v_add_co_ci_u32_e32 v10, vcc_lo, 0, v14, vcc_lo
	s_delay_alu instid0(VALU_DEP_2) | instskip(NEXT) | instid1(VALU_DEP_2)
	v_add_co_u32 v8, vcc_lo, v9, v8
	v_add_co_ci_u32_e32 v9, vcc_lo, 0, v10, vcc_lo
	s_delay_alu instid0(VALU_DEP_2) | instskip(NEXT) | instid1(VALU_DEP_2)
	v_add_co_u32 v2, vcc_lo, v2, v8
	v_add_co_ci_u32_e32 v7, vcc_lo, v7, v9, vcc_lo
	s_delay_alu instid0(VALU_DEP_2) | instskip(SKIP_1) | instid1(VALU_DEP_3)
	v_mul_hi_u32 v8, s2, v2
	v_mul_lo_u32 v10, s20, v2
	v_mul_lo_u32 v9, s2, v7
	s_delay_alu instid0(VALU_DEP_1) | instskip(SKIP_1) | instid1(VALU_DEP_2)
	v_add_nc_u32_e32 v8, v8, v9
	v_mul_lo_u32 v9, s2, v2
	v_add_nc_u32_e32 v8, v8, v10
	s_delay_alu instid0(VALU_DEP_2) | instskip(NEXT) | instid1(VALU_DEP_2)
	v_mul_hi_u32 v10, v2, v9
	v_mul_lo_u32 v11, v2, v8
	v_mul_hi_u32 v12, v2, v8
	v_mul_hi_u32 v13, v7, v9
	v_mul_lo_u32 v9, v7, v9
	v_mul_hi_u32 v14, v7, v8
	v_mul_lo_u32 v8, v7, v8
	v_add_co_u32 v10, vcc_lo, v10, v11
	v_add_co_ci_u32_e32 v11, vcc_lo, 0, v12, vcc_lo
	s_delay_alu instid0(VALU_DEP_2) | instskip(NEXT) | instid1(VALU_DEP_2)
	v_add_co_u32 v9, vcc_lo, v10, v9
	v_add_co_ci_u32_e32 v9, vcc_lo, v11, v13, vcc_lo
	v_add_co_ci_u32_e32 v10, vcc_lo, 0, v14, vcc_lo
	s_delay_alu instid0(VALU_DEP_2) | instskip(NEXT) | instid1(VALU_DEP_2)
	v_add_co_u32 v8, vcc_lo, v9, v8
	v_add_co_ci_u32_e32 v9, vcc_lo, 0, v10, vcc_lo
	s_delay_alu instid0(VALU_DEP_2) | instskip(NEXT) | instid1(VALU_DEP_2)
	v_add_co_u32 v2, vcc_lo, v2, v8
	v_add_co_ci_u32_e32 v13, vcc_lo, v7, v9, vcc_lo
	s_delay_alu instid0(VALU_DEP_2) | instskip(SKIP_1) | instid1(VALU_DEP_3)
	v_mul_hi_u32 v14, v5, v2
	v_mad_u64_u32 v[9:10], null, v6, v2, 0
	v_mad_u64_u32 v[7:8], null, v5, v13, 0
	;; [unrolled: 1-line block ×3, first 2 shown]
	s_delay_alu instid0(VALU_DEP_2) | instskip(NEXT) | instid1(VALU_DEP_3)
	v_add_co_u32 v2, vcc_lo, v14, v7
	v_add_co_ci_u32_e32 v7, vcc_lo, 0, v8, vcc_lo
	s_delay_alu instid0(VALU_DEP_2) | instskip(NEXT) | instid1(VALU_DEP_2)
	v_add_co_u32 v2, vcc_lo, v2, v9
	v_add_co_ci_u32_e32 v2, vcc_lo, v7, v10, vcc_lo
	v_add_co_ci_u32_e32 v7, vcc_lo, 0, v12, vcc_lo
	s_delay_alu instid0(VALU_DEP_2) | instskip(NEXT) | instid1(VALU_DEP_2)
	v_add_co_u32 v2, vcc_lo, v2, v11
	v_add_co_ci_u32_e32 v9, vcc_lo, 0, v7, vcc_lo
	s_delay_alu instid0(VALU_DEP_2) | instskip(SKIP_1) | instid1(VALU_DEP_3)
	v_mul_lo_u32 v10, s19, v2
	v_mad_u64_u32 v[7:8], null, s18, v2, 0
	v_mul_lo_u32 v11, s18, v9
	s_delay_alu instid0(VALU_DEP_2) | instskip(NEXT) | instid1(VALU_DEP_2)
	v_sub_co_u32 v7, vcc_lo, v5, v7
	v_add3_u32 v8, v8, v11, v10
	s_delay_alu instid0(VALU_DEP_1) | instskip(NEXT) | instid1(VALU_DEP_1)
	v_sub_nc_u32_e32 v10, v6, v8
	v_subrev_co_ci_u32_e64 v10, s2, s19, v10, vcc_lo
	v_add_co_u32 v11, s2, v2, 2
	s_delay_alu instid0(VALU_DEP_1) | instskip(SKIP_3) | instid1(VALU_DEP_3)
	v_add_co_ci_u32_e64 v12, s2, 0, v9, s2
	v_sub_co_u32 v13, s2, v7, s18
	v_sub_co_ci_u32_e32 v8, vcc_lo, v6, v8, vcc_lo
	v_subrev_co_ci_u32_e64 v10, s2, 0, v10, s2
	v_cmp_le_u32_e32 vcc_lo, s18, v13
	s_delay_alu instid0(VALU_DEP_3) | instskip(SKIP_1) | instid1(VALU_DEP_4)
	v_cmp_eq_u32_e64 s2, s19, v8
	v_cndmask_b32_e64 v13, 0, -1, vcc_lo
	v_cmp_le_u32_e32 vcc_lo, s19, v10
	v_cndmask_b32_e64 v14, 0, -1, vcc_lo
	v_cmp_le_u32_e32 vcc_lo, s18, v7
	;; [unrolled: 2-line block ×3, first 2 shown]
	v_cndmask_b32_e64 v15, 0, -1, vcc_lo
	v_cmp_eq_u32_e32 vcc_lo, s19, v10
	s_delay_alu instid0(VALU_DEP_2) | instskip(SKIP_3) | instid1(VALU_DEP_3)
	v_cndmask_b32_e64 v7, v15, v7, s2
	v_cndmask_b32_e32 v10, v14, v13, vcc_lo
	v_add_co_u32 v13, vcc_lo, v2, 1
	v_add_co_ci_u32_e32 v14, vcc_lo, 0, v9, vcc_lo
	v_cmp_ne_u32_e32 vcc_lo, 0, v10
	s_delay_alu instid0(VALU_DEP_2) | instskip(NEXT) | instid1(VALU_DEP_4)
	v_cndmask_b32_e32 v8, v14, v12, vcc_lo
	v_cndmask_b32_e32 v10, v13, v11, vcc_lo
	v_cmp_ne_u32_e32 vcc_lo, 0, v7
	s_delay_alu instid0(VALU_DEP_2)
	v_dual_cndmask_b32 v7, v2, v10 :: v_dual_cndmask_b32 v8, v9, v8
.LBB0_4:                                ;   in Loop: Header=BB0_2 Depth=1
	s_and_not1_saveexec_b32 s2, s3
	s_cbranch_execz .LBB0_6
; %bb.5:                                ;   in Loop: Header=BB0_2 Depth=1
	v_cvt_f32_u32_e32 v2, s18
	s_sub_i32 s3, 0, s18
	s_delay_alu instid0(VALU_DEP_1) | instskip(SKIP_2) | instid1(VALU_DEP_1)
	v_rcp_iflag_f32_e32 v2, v2
	s_waitcnt_depctr 0xfff
	v_mul_f32_e32 v2, 0x4f7ffffe, v2
	v_cvt_u32_f32_e32 v2, v2
	s_delay_alu instid0(VALU_DEP_1) | instskip(NEXT) | instid1(VALU_DEP_1)
	v_mul_lo_u32 v7, s3, v2
	v_mul_hi_u32 v7, v2, v7
	s_delay_alu instid0(VALU_DEP_1) | instskip(NEXT) | instid1(VALU_DEP_1)
	v_add_nc_u32_e32 v2, v2, v7
	v_mul_hi_u32 v2, v5, v2
	s_delay_alu instid0(VALU_DEP_1) | instskip(SKIP_1) | instid1(VALU_DEP_2)
	v_mul_lo_u32 v7, v2, s18
	v_add_nc_u32_e32 v8, 1, v2
	v_sub_nc_u32_e32 v7, v5, v7
	s_delay_alu instid0(VALU_DEP_1) | instskip(SKIP_1) | instid1(VALU_DEP_2)
	v_subrev_nc_u32_e32 v9, s18, v7
	v_cmp_le_u32_e32 vcc_lo, s18, v7
	v_dual_cndmask_b32 v7, v7, v9 :: v_dual_cndmask_b32 v2, v2, v8
	s_delay_alu instid0(VALU_DEP_1) | instskip(NEXT) | instid1(VALU_DEP_2)
	v_cmp_le_u32_e32 vcc_lo, s18, v7
	v_add_nc_u32_e32 v8, 1, v2
	s_delay_alu instid0(VALU_DEP_1)
	v_dual_cndmask_b32 v7, v2, v8 :: v_dual_mov_b32 v8, v1
.LBB0_6:                                ;   in Loop: Header=BB0_2 Depth=1
	s_or_b32 exec_lo, exec_lo, s2
	s_load_b64 s[2:3], s[12:13], 0x0
	s_delay_alu instid0(VALU_DEP_1) | instskip(NEXT) | instid1(VALU_DEP_2)
	v_mul_lo_u32 v2, v8, s18
	v_mul_lo_u32 v11, v7, s19
	v_mad_u64_u32 v[9:10], null, v7, s18, 0
	s_add_u32 s16, s16, 1
	s_addc_u32 s17, s17, 0
	s_add_u32 s12, s12, 8
	s_addc_u32 s13, s13, 0
	;; [unrolled: 2-line block ×3, first 2 shown]
	s_delay_alu instid0(VALU_DEP_1) | instskip(SKIP_1) | instid1(VALU_DEP_2)
	v_add3_u32 v2, v10, v11, v2
	v_sub_co_u32 v9, vcc_lo, v5, v9
	v_sub_co_ci_u32_e32 v2, vcc_lo, v6, v2, vcc_lo
	s_waitcnt lgkmcnt(0)
	s_delay_alu instid0(VALU_DEP_2) | instskip(NEXT) | instid1(VALU_DEP_2)
	v_mul_lo_u32 v10, s3, v9
	v_mul_lo_u32 v2, s2, v2
	v_mad_u64_u32 v[5:6], null, s2, v9, v[3:4]
	v_cmp_ge_u64_e64 s2, s[16:17], s[6:7]
	s_delay_alu instid0(VALU_DEP_1) | instskip(NEXT) | instid1(VALU_DEP_2)
	s_and_b32 vcc_lo, exec_lo, s2
	v_add3_u32 v4, v10, v6, v2
	s_delay_alu instid0(VALU_DEP_3)
	v_mov_b32_e32 v3, v5
	s_cbranch_vccnz .LBB0_9
; %bb.7:                                ;   in Loop: Header=BB0_2 Depth=1
	v_dual_mov_b32 v5, v7 :: v_dual_mov_b32 v6, v8
	s_branch .LBB0_2
.LBB0_8:
	v_dual_mov_b32 v8, v6 :: v_dual_mov_b32 v7, v5
.LBB0_9:
	s_lshl_b64 s[2:3], s[6:7], 3
	v_mul_hi_u32 v5, 0x2aaaaab, v0
	s_add_u32 s2, s10, s2
	s_addc_u32 s3, s11, s3
	s_load_b64 s[2:3], s[2:3], 0x0
	s_load_b64 s[0:1], s[0:1], 0x20
	s_waitcnt lgkmcnt(0)
	v_mul_lo_u32 v6, s2, v8
	v_mul_lo_u32 v9, s3, v7
	v_mad_u64_u32 v[1:2], null, s2, v7, v[3:4]
	v_mul_u32_u24_e32 v3, 0x60, v5
	v_cmp_gt_u64_e32 vcc_lo, s[0:1], v[7:8]
	s_delay_alu instid0(VALU_DEP_2) | instskip(NEXT) | instid1(VALU_DEP_4)
	v_sub_nc_u32_e32 v66, v0, v3
	v_add3_u32 v2, v9, v2, v6
	s_delay_alu instid0(VALU_DEP_2) | instskip(NEXT) | instid1(VALU_DEP_2)
	v_lshl_add_u32 v70, v66, 4, 0
	v_lshlrev_b64 v[68:69], 4, v[1:2]
	v_or_b32_e32 v64, 0x180, v66
	s_and_saveexec_b32 s1, vcc_lo
	s_cbranch_execz .LBB0_11
; %bb.10:
	v_mov_b32_e32 v67, 0
	s_delay_alu instid0(VALU_DEP_3) | instskip(NEXT) | instid1(VALU_DEP_1)
	v_add_co_u32 v2, s0, s8, v68
	v_add_co_ci_u32_e64 v3, s0, s9, v69, s0
	s_delay_alu instid0(VALU_DEP_3) | instskip(SKIP_1) | instid1(VALU_DEP_2)
	v_lshlrev_b64 v[0:1], 4, v[66:67]
	v_mov_b32_e32 v65, v67
	v_add_co_u32 v8, s0, v2, v0
	s_delay_alu instid0(VALU_DEP_1) | instskip(NEXT) | instid1(VALU_DEP_3)
	v_add_co_ci_u32_e64 v9, s0, v3, v1, s0
	v_lshlrev_b64 v[0:1], 4, v[64:65]
	s_delay_alu instid0(VALU_DEP_3) | instskip(NEXT) | instid1(VALU_DEP_1)
	v_add_co_u32 v20, s0, 0x1000, v8
	v_add_co_ci_u32_e64 v21, s0, 0, v9, s0
	s_delay_alu instid0(VALU_DEP_3) | instskip(NEXT) | instid1(VALU_DEP_1)
	v_add_co_u32 v16, s0, v2, v0
	v_add_co_ci_u32_e64 v17, s0, v3, v1, s0
	s_clause 0x5
	global_load_b128 v[0:3], v[8:9], off
	global_load_b128 v[4:7], v[8:9], off offset:1536
	global_load_b128 v[8:11], v[8:9], off offset:3072
	;; [unrolled: 1-line block ×3, first 2 shown]
	global_load_b128 v[16:19], v[16:17], off
	global_load_b128 v[20:23], v[20:21], off offset:3584
	s_waitcnt vmcnt(5)
	ds_store_b128 v70, v[0:3]
	s_waitcnt vmcnt(4)
	ds_store_b128 v70, v[4:7] offset:1536
	s_waitcnt vmcnt(3)
	ds_store_b128 v70, v[8:11] offset:3072
	;; [unrolled: 2-line block ×5, first 2 shown]
.LBB0_11:
	s_or_b32 exec_lo, exec_lo, s1
	s_waitcnt lgkmcnt(0)
	s_barrier
	buffer_gl0_inv
	ds_load_b128 v[0:3], v70
	ds_load_b128 v[8:11], v70 offset:576
	ds_load_b128 v[24:27], v70 offset:1152
	;; [unrolled: 1-line block ×15, first 2 shown]
	s_mov_b32 s6, exec_lo
	s_waitcnt lgkmcnt(0)
	s_barrier
	buffer_gl0_inv
	v_cmpx_gt_u32_e32 36, v66
	s_cbranch_execz .LBB0_13
; %bb.12:
	v_add_f64 v[34:35], v[2:3], -v[34:35]
	v_add_f64 v[36:37], v[4:5], -v[36:37]
	;; [unrolled: 1-line block ×16, first 2 shown]
	s_mov_b32 s0, 0x667f3bcd
	s_mov_b32 s1, 0x3fe6a09e
	;; [unrolled: 1-line block ×12, first 2 shown]
	v_mad_u32_u24 v65, 0xf0, v66, v70
	v_fma_f64 v[2:3], v[2:3], 2.0, -v[34:35]
	v_add_f64 v[71:72], v[34:35], v[36:37]
	v_fma_f64 v[26:27], v[26:27], 2.0, -v[58:59]
	v_add_f64 v[73:74], v[58:59], v[60:61]
	v_fma_f64 v[24:25], v[24:25], 2.0, -v[56:57]
	v_add_f64 v[75:76], v[56:57], -v[62:63]
	v_fma_f64 v[28:29], v[28:29], 2.0, -v[60:61]
	v_add_f64 v[77:78], v[42:43], v[44:45]
	v_fma_f64 v[30:31], v[30:31], 2.0, -v[62:63]
	v_add_f64 v[79:80], v[50:51], v[52:53]
	v_fma_f64 v[12:13], v[12:13], 2.0, -v[48:49]
	v_add_f64 v[81:82], v[48:49], -v[54:55]
	v_fma_f64 v[8:9], v[8:9], 2.0, -v[40:41]
	v_add_f64 v[83:84], v[40:41], -v[46:47]
	;; [unrolled: 2-line block ×3, first 2 shown]
	v_fma_f64 v[6:7], v[6:7], 2.0, -v[38:39]
	v_fma_f64 v[20:21], v[20:21], 2.0, -v[52:53]
	;; [unrolled: 1-line block ×11, first 2 shown]
	v_add_f64 v[28:29], v[24:25], -v[28:29]
	v_fma_f64 v[42:43], v[42:43], 2.0, -v[77:78]
	v_add_f64 v[30:31], v[26:27], -v[30:31]
	v_fma_f64 v[44:45], v[50:51], 2.0, -v[79:80]
	v_fma_f64 v[50:51], v[79:80], s[0:1], v[77:78]
	v_fma_f64 v[46:47], v[48:49], 2.0, -v[81:82]
	v_fma_f64 v[48:49], v[73:74], s[0:1], v[71:72]
	v_fma_f64 v[40:41], v[40:41], 2.0, -v[83:84]
	v_add_f64 v[16:17], v[8:9], -v[16:17]
	v_fma_f64 v[32:33], v[32:33], 2.0, -v[85:86]
	v_add_f64 v[6:7], v[2:3], -v[6:7]
	v_add_f64 v[20:21], v[12:13], -v[20:21]
	v_fma_f64 v[52:53], v[81:82], s[0:1], v[83:84]
	v_fma_f64 v[54:55], v[75:76], s[0:1], v[85:86]
	v_add_f64 v[18:19], v[10:11], -v[18:19]
	v_add_f64 v[22:23], v[14:15], -v[22:23]
	v_add_f64 v[4:5], v[0:1], -v[4:5]
	v_fma_f64 v[56:57], v[36:37], s[2:3], v[34:35]
	v_fma_f64 v[24:25], v[24:25], 2.0, -v[28:29]
	v_fma_f64 v[26:27], v[26:27], 2.0, -v[30:31]
	v_fma_f64 v[58:59], v[44:45], s[2:3], v[42:43]
	v_fma_f64 v[50:51], v[81:82], s[0:1], v[50:51]
	;; [unrolled: 1-line block ×4, first 2 shown]
	v_fma_f64 v[8:9], v[8:9], 2.0, -v[16:17]
	v_fma_f64 v[62:63], v[38:39], s[2:3], v[32:33]
	v_fma_f64 v[2:3], v[2:3], 2.0, -v[6:7]
	v_fma_f64 v[12:13], v[12:13], 2.0, -v[20:21]
	v_fma_f64 v[52:53], v[79:80], s[2:3], v[52:53]
	v_fma_f64 v[54:55], v[73:74], s[2:3], v[54:55]
	v_add_f64 v[73:74], v[6:7], v[28:29]
	v_add_f64 v[20:21], v[18:19], v[20:21]
	v_add_f64 v[75:76], v[16:17], -v[22:23]
	v_add_f64 v[79:80], v[4:5], -v[30:31]
	v_fma_f64 v[0:1], v[0:1], 2.0, -v[4:5]
	v_fma_f64 v[10:11], v[10:11], 2.0, -v[18:19]
	v_fma_f64 v[14:15], v[14:15], 2.0, -v[22:23]
	v_fma_f64 v[56:57], v[38:39], s[0:1], v[56:57]
	v_fma_f64 v[28:29], v[46:47], s[0:1], v[58:59]
	v_fma_f64 v[46:47], v[71:72], 2.0, -v[48:49]
	v_fma_f64 v[22:23], v[44:45], s[2:3], v[60:61]
	v_fma_f64 v[58:59], v[36:37], s[2:3], v[62:63]
	v_add_f64 v[44:45], v[2:3], -v[26:27]
	v_fma_f64 v[26:27], v[77:78], 2.0, -v[50:51]
	v_fma_f64 v[30:31], v[83:84], 2.0, -v[52:53]
	;; [unrolled: 1-line block ×7, first 2 shown]
	v_add_f64 v[12:13], v[8:9], -v[12:13]
	v_add_f64 v[77:78], v[0:1], -v[24:25]
	;; [unrolled: 1-line block ×3, first 2 shown]
	v_fma_f64 v[4:5], v[50:51], s[10:11], v[48:49]
	v_fma_f64 v[6:7], v[20:21], s[0:1], v[73:74]
	;; [unrolled: 1-line block ×4, first 2 shown]
	v_fma_f64 v[81:82], v[34:35], 2.0, -v[56:57]
	v_fma_f64 v[34:35], v[42:43], 2.0, -v[28:29]
	;; [unrolled: 1-line block ×4, first 2 shown]
	v_fma_f64 v[32:33], v[28:29], s[12:13], v[56:57]
	v_fma_f64 v[42:43], v[26:27], s[14:15], v[46:47]
	;; [unrolled: 1-line block ×4, first 2 shown]
	v_fma_f64 v[91:92], v[2:3], 2.0, -v[44:45]
	v_fma_f64 v[85:86], v[36:37], s[2:3], v[60:61]
	v_fma_f64 v[87:88], v[16:17], s[2:3], v[62:63]
	v_fma_f64 v[97:98], v[8:9], 2.0, -v[12:13]
	v_fma_f64 v[95:96], v[0:1], 2.0, -v[77:78]
	;; [unrolled: 1-line block ×3, first 2 shown]
	v_fma_f64 v[2:3], v[52:53], s[12:13], v[4:5]
	v_fma_f64 v[6:7], v[75:76], s[0:1], v[6:7]
	;; [unrolled: 1-line block ×4, first 2 shown]
	v_add_f64 v[10:11], v[44:45], v[12:13]
	v_add_f64 v[8:9], v[77:78], -v[14:15]
	v_fma_f64 v[99:100], v[34:35], s[16:17], v[81:82]
	v_fma_f64 v[101:102], v[38:39], s[16:17], v[83:84]
	;; [unrolled: 1-line block ×8, first 2 shown]
	v_add_f64 v[24:25], v[95:96], -v[97:98]
	v_add_f64 v[26:27], v[91:92], -v[93:94]
	v_fma_f64 v[36:37], v[79:80], 2.0, -v[4:5]
	v_fma_f64 v[32:33], v[54:55], 2.0, -v[0:1]
	;; [unrolled: 1-line block ×4, first 2 shown]
	v_fma_f64 v[30:31], v[38:39], s[12:13], v[99:100]
	v_fma_f64 v[38:39], v[73:74], 2.0, -v[6:7]
	v_fma_f64 v[28:29], v[34:35], s[14:15], v[101:102]
	v_fma_f64 v[34:35], v[48:49], 2.0, -v[2:3]
	v_fma_f64 v[46:47], v[46:47], 2.0, -v[14:15]
	;; [unrolled: 1-line block ×11, first 2 shown]
	ds_store_b128 v65, v[36:39] offset:96
	ds_store_b128 v65, v[32:35] offset:112
	;; [unrolled: 1-line block ×12, first 2 shown]
	ds_store_b128 v65, v[56:59]
	ds_store_b128 v65, v[60:63] offset:16
	ds_store_b128 v65, v[4:7] offset:224
	;; [unrolled: 1-line block ×3, first 2 shown]
.LBB0_13:
	s_or_b32 exec_lo, exec_lo, s6
	v_and_b32_e32 v40, 15, v66
	s_waitcnt lgkmcnt(0)
	s_barrier
	buffer_gl0_inv
	s_mov_b32 s2, 0xe8584caa
	v_mul_u32_u24_e32 v0, 5, v40
	s_mov_b32 s3, 0x3febb67a
	s_mov_b32 s1, 0xbfebb67a
	;; [unrolled: 1-line block ×3, first 2 shown]
	s_delay_alu instid0(VALU_DEP_1)
	v_lshlrev_b32_e32 v16, 4, v0
	s_clause 0x4
	global_load_b128 v[0:3], v16, s[4:5] offset:32
	global_load_b128 v[4:7], v16, s[4:5] offset:64
	global_load_b128 v[8:11], v16, s[4:5]
	global_load_b128 v[12:15], v16, s[4:5] offset:16
	global_load_b128 v[16:19], v16, s[4:5] offset:48
	ds_load_b128 v[20:23], v70 offset:4608
	ds_load_b128 v[24:27], v70 offset:7680
	;; [unrolled: 1-line block ×3, first 2 shown]
	s_waitcnt vmcnt(4) lgkmcnt(2)
	v_mul_f64 v[32:33], v[22:23], v[2:3]
	v_mul_f64 v[2:3], v[20:21], v[2:3]
	s_waitcnt vmcnt(3) lgkmcnt(1)
	v_mul_f64 v[34:35], v[24:25], v[6:7]
	v_mul_f64 v[6:7], v[26:27], v[6:7]
	;; [unrolled: 3-line block ×3, first 2 shown]
	v_fma_f64 v[20:21], v[20:21], v[0:1], -v[32:33]
	v_fma_f64 v[22:23], v[22:23], v[0:1], v[2:3]
	v_fma_f64 v[26:27], v[26:27], v[4:5], v[34:35]
	v_fma_f64 v[24:25], v[24:25], v[4:5], -v[6:7]
	ds_load_b128 v[0:3], v70 offset:3072
	ds_load_b128 v[4:7], v70 offset:6144
	v_fma_f64 v[28:29], v[28:29], v[8:9], -v[36:37]
	v_fma_f64 v[8:9], v[30:31], v[8:9], v[10:11]
	s_waitcnt vmcnt(1) lgkmcnt(1)
	v_mul_f64 v[32:33], v[2:3], v[14:15]
	v_mul_f64 v[14:15], v[0:1], v[14:15]
	s_waitcnt vmcnt(0) lgkmcnt(0)
	v_mul_f64 v[34:35], v[6:7], v[18:19]
	v_mul_f64 v[18:19], v[4:5], v[18:19]
	v_add_f64 v[10:11], v[22:23], v[26:27]
	v_add_f64 v[30:31], v[20:21], v[24:25]
	v_fma_f64 v[32:33], v[0:1], v[12:13], -v[32:33]
	v_fma_f64 v[12:13], v[2:3], v[12:13], v[14:15]
	v_fma_f64 v[4:5], v[4:5], v[16:17], -v[34:35]
	v_fma_f64 v[6:7], v[6:7], v[16:17], v[18:19]
	v_add_f64 v[0:1], v[22:23], -v[26:27]
	v_add_f64 v[2:3], v[20:21], -v[24:25]
	v_add_f64 v[20:21], v[28:29], v[20:21]
	v_fma_f64 v[10:11], v[10:11], -0.5, v[8:9]
	v_fma_f64 v[14:15], v[30:31], -0.5, v[28:29]
	v_add_f64 v[8:9], v[8:9], v[22:23]
	v_add_f64 v[16:17], v[32:33], v[4:5]
	;; [unrolled: 1-line block ×3, first 2 shown]
	v_add_f64 v[38:39], v[12:13], -v[6:7]
	v_fma_f64 v[30:31], v[2:3], s[0:1], v[10:11]
	v_fma_f64 v[34:35], v[0:1], s[0:1], v[14:15]
	;; [unrolled: 1-line block ×4, first 2 shown]
	ds_load_b128 v[0:3], v70
	v_add_f64 v[8:9], v[8:9], v[26:27]
	s_waitcnt lgkmcnt(0)
	s_barrier
	buffer_gl0_inv
	v_add_f64 v[36:37], v[0:1], v[32:33]
	v_add_f64 v[12:13], v[2:3], v[12:13]
	v_fma_f64 v[0:1], v[16:17], -0.5, v[0:1]
	v_add_f64 v[16:17], v[32:33], -v[4:5]
	v_fma_f64 v[2:3], v[18:19], -0.5, v[2:3]
	v_mul_f64 v[18:19], v[30:31], s[2:3]
	v_mul_f64 v[22:23], v[34:35], -0.5
	v_mul_f64 v[28:29], v[14:15], s[0:1]
	v_mul_f64 v[32:33], v[10:11], -0.5
	v_add_f64 v[4:5], v[36:37], v[4:5]
	v_add_f64 v[6:7], v[12:13], v[6:7]
	;; [unrolled: 1-line block ×3, first 2 shown]
	v_fma_f64 v[20:21], v[38:39], s[2:3], v[0:1]
	v_fma_f64 v[26:27], v[16:17], s[0:1], v[2:3]
	;; [unrolled: 1-line block ×4, first 2 shown]
	v_fma_f64 v[16:17], v[14:15], 0.5, v[18:19]
	v_fma_f64 v[18:19], v[10:11], s[2:3], v[22:23]
	v_fma_f64 v[22:23], v[30:31], 0.5, v[28:29]
	v_fma_f64 v[28:29], v[34:35], s[0:1], v[32:33]
	v_add_f64 v[2:3], v[6:7], v[8:9]
	v_add_f64 v[0:1], v[4:5], v[12:13]
	v_add_f64 v[6:7], v[6:7], -v[8:9]
	v_add_f64 v[4:5], v[4:5], -v[12:13]
	v_add_f64 v[8:9], v[20:21], v[16:17]
	v_add_f64 v[12:13], v[24:25], v[18:19]
	;; [unrolled: 1-line block ×4, first 2 shown]
	v_add_f64 v[16:17], v[20:21], -v[16:17]
	v_add_f64 v[20:21], v[24:25], -v[18:19]
	;; [unrolled: 1-line block ×4, first 2 shown]
	v_lshrrev_b32_e32 v24, 4, v66
	v_mul_u32_u24_e32 v25, 5, v66
	s_delay_alu instid0(VALU_DEP_2) | instskip(NEXT) | instid1(VALU_DEP_2)
	v_mul_u32_u24_e32 v24, 0x60, v24
	v_lshlrev_b32_e32 v25, 4, v25
	s_delay_alu instid0(VALU_DEP_2) | instskip(NEXT) | instid1(VALU_DEP_1)
	v_or_b32_e32 v24, v24, v40
	v_lshl_add_u32 v24, v24, 4, 0
	ds_store_b128 v24, v[0:3]
	ds_store_b128 v24, v[8:11] offset:256
	ds_store_b128 v24, v[12:15] offset:512
	;; [unrolled: 1-line block ×5, first 2 shown]
	s_waitcnt lgkmcnt(0)
	s_barrier
	buffer_gl0_inv
	s_clause 0x4
	global_load_b128 v[0:3], v25, s[4:5] offset:1312
	global_load_b128 v[4:7], v25, s[4:5] offset:1344
	global_load_b128 v[8:11], v25, s[4:5] offset:1280
	global_load_b128 v[12:15], v25, s[4:5] offset:1296
	global_load_b128 v[16:19], v25, s[4:5] offset:1328
	ds_load_b128 v[20:23], v70 offset:4608
	ds_load_b128 v[24:27], v70 offset:7680
	;; [unrolled: 1-line block ×3, first 2 shown]
	s_waitcnt vmcnt(4) lgkmcnt(2)
	v_mul_f64 v[32:33], v[22:23], v[2:3]
	v_mul_f64 v[2:3], v[20:21], v[2:3]
	s_waitcnt vmcnt(3) lgkmcnt(1)
	v_mul_f64 v[34:35], v[24:25], v[6:7]
	v_mul_f64 v[6:7], v[26:27], v[6:7]
	;; [unrolled: 3-line block ×3, first 2 shown]
	v_fma_f64 v[20:21], v[20:21], v[0:1], -v[32:33]
	v_fma_f64 v[22:23], v[22:23], v[0:1], v[2:3]
	v_fma_f64 v[26:27], v[26:27], v[4:5], v[34:35]
	v_fma_f64 v[24:25], v[24:25], v[4:5], -v[6:7]
	ds_load_b128 v[0:3], v70 offset:3072
	ds_load_b128 v[4:7], v70 offset:6144
	v_fma_f64 v[28:29], v[28:29], v[8:9], -v[36:37]
	v_fma_f64 v[8:9], v[30:31], v[8:9], v[10:11]
	s_waitcnt vmcnt(1) lgkmcnt(1)
	v_mul_f64 v[32:33], v[2:3], v[14:15]
	v_mul_f64 v[14:15], v[0:1], v[14:15]
	s_waitcnt vmcnt(0) lgkmcnt(0)
	v_mul_f64 v[34:35], v[6:7], v[18:19]
	v_mul_f64 v[18:19], v[4:5], v[18:19]
	v_add_f64 v[10:11], v[22:23], v[26:27]
	v_add_f64 v[30:31], v[20:21], v[24:25]
	v_fma_f64 v[32:33], v[0:1], v[12:13], -v[32:33]
	v_fma_f64 v[12:13], v[2:3], v[12:13], v[14:15]
	v_fma_f64 v[4:5], v[4:5], v[16:17], -v[34:35]
	v_fma_f64 v[6:7], v[6:7], v[16:17], v[18:19]
	v_add_f64 v[0:1], v[22:23], -v[26:27]
	v_add_f64 v[2:3], v[20:21], -v[24:25]
	v_add_f64 v[20:21], v[28:29], v[20:21]
	v_fma_f64 v[10:11], v[10:11], -0.5, v[8:9]
	v_fma_f64 v[14:15], v[30:31], -0.5, v[28:29]
	v_add_f64 v[8:9], v[8:9], v[22:23]
	v_add_f64 v[16:17], v[32:33], v[4:5]
	;; [unrolled: 1-line block ×3, first 2 shown]
	v_add_f64 v[38:39], v[12:13], -v[6:7]
	v_fma_f64 v[30:31], v[2:3], s[0:1], v[10:11]
	v_fma_f64 v[34:35], v[0:1], s[0:1], v[14:15]
	;; [unrolled: 1-line block ×4, first 2 shown]
	ds_load_b128 v[0:3], v70
	v_add_f64 v[8:9], v[8:9], v[26:27]
	s_waitcnt lgkmcnt(0)
	s_barrier
	buffer_gl0_inv
	v_add_f64 v[36:37], v[0:1], v[32:33]
	v_add_f64 v[12:13], v[2:3], v[12:13]
	v_fma_f64 v[0:1], v[16:17], -0.5, v[0:1]
	v_add_f64 v[16:17], v[32:33], -v[4:5]
	v_fma_f64 v[2:3], v[18:19], -0.5, v[2:3]
	v_mul_f64 v[18:19], v[30:31], s[2:3]
	v_mul_f64 v[22:23], v[34:35], -0.5
	v_mul_f64 v[28:29], v[14:15], s[0:1]
	v_mul_f64 v[32:33], v[10:11], -0.5
	v_add_f64 v[4:5], v[36:37], v[4:5]
	v_add_f64 v[6:7], v[12:13], v[6:7]
	v_add_f64 v[12:13], v[20:21], v[24:25]
	v_fma_f64 v[20:21], v[38:39], s[2:3], v[0:1]
	v_fma_f64 v[26:27], v[16:17], s[0:1], v[2:3]
	;; [unrolled: 1-line block ×4, first 2 shown]
	v_fma_f64 v[16:17], v[14:15], 0.5, v[18:19]
	v_fma_f64 v[18:19], v[10:11], s[2:3], v[22:23]
	v_fma_f64 v[22:23], v[30:31], 0.5, v[28:29]
	v_fma_f64 v[28:29], v[34:35], s[0:1], v[32:33]
	s_add_u32 s1, s4, 0x2300
	s_addc_u32 s2, s5, 0
	s_mov_b32 s3, exec_lo
	v_add_f64 v[2:3], v[6:7], v[8:9]
	v_add_f64 v[0:1], v[4:5], v[12:13]
	v_add_f64 v[6:7], v[6:7], -v[8:9]
	v_add_f64 v[4:5], v[4:5], -v[12:13]
	v_add_f64 v[8:9], v[20:21], v[16:17]
	v_add_f64 v[12:13], v[24:25], v[18:19]
	;; [unrolled: 1-line block ×4, first 2 shown]
	v_add_f64 v[16:17], v[20:21], -v[16:17]
	v_add_f64 v[20:21], v[24:25], -v[18:19]
	;; [unrolled: 1-line block ×4, first 2 shown]
	ds_store_b128 v70, v[0:3]
	ds_store_b128 v70, v[8:11] offset:1536
	ds_store_b128 v70, v[12:15] offset:3072
	;; [unrolled: 1-line block ×5, first 2 shown]
	s_waitcnt lgkmcnt(0)
	s_barrier
	buffer_gl0_inv
	ds_load_b128 v[0:3], v70
	v_lshlrev_b32_e32 v4, 4, v66
                                        ; implicit-def: $vgpr6_vgpr7
                                        ; implicit-def: $vgpr8_vgpr9
	s_delay_alu instid0(VALU_DEP_1)
	v_sub_nc_u32_e32 v10, 0, v4
                                        ; implicit-def: $vgpr4_vgpr5
	v_cmpx_ne_u32_e32 0, v66
	s_xor_b32 s3, exec_lo, s3
	s_cbranch_execz .LBB0_15
; %bb.14:
	v_mov_b32_e32 v67, 0
	ds_load_b128 v[11:14], v10 offset:9216
	v_lshlrev_b64 v[4:5], 4, v[66:67]
	s_delay_alu instid0(VALU_DEP_1) | instskip(NEXT) | instid1(VALU_DEP_1)
	v_add_co_u32 v4, s0, s1, v4
	v_add_co_ci_u32_e64 v5, s0, s2, v5, s0
	global_load_b128 v[6:9], v[4:5], off
	s_waitcnt lgkmcnt(0)
	v_add_f64 v[4:5], v[0:1], -v[11:12]
	v_add_f64 v[15:16], v[2:3], v[13:14]
	v_add_f64 v[2:3], v[2:3], -v[13:14]
	v_add_f64 v[0:1], v[0:1], v[11:12]
	s_delay_alu instid0(VALU_DEP_4) | instskip(NEXT) | instid1(VALU_DEP_4)
	v_mul_f64 v[4:5], v[4:5], 0.5
	v_mul_f64 v[13:14], v[15:16], 0.5
	s_delay_alu instid0(VALU_DEP_4) | instskip(SKIP_1) | instid1(VALU_DEP_3)
	v_mul_f64 v[2:3], v[2:3], 0.5
	s_waitcnt vmcnt(0)
	v_mul_f64 v[11:12], v[4:5], v[8:9]
	s_delay_alu instid0(VALU_DEP_2) | instskip(SKIP_1) | instid1(VALU_DEP_3)
	v_fma_f64 v[15:16], v[13:14], v[8:9], v[2:3]
	v_fma_f64 v[2:3], v[13:14], v[8:9], -v[2:3]
	v_fma_f64 v[8:9], v[0:1], 0.5, v[11:12]
	v_fma_f64 v[0:1], v[0:1], 0.5, -v[11:12]
	s_delay_alu instid0(VALU_DEP_4) | instskip(NEXT) | instid1(VALU_DEP_4)
	v_fma_f64 v[11:12], -v[6:7], v[4:5], v[15:16]
	v_fma_f64 v[2:3], -v[6:7], v[4:5], v[2:3]
	ds_store_b64 v70, v[11:12] offset:8
	ds_store_b64 v10, v[2:3] offset:9224
	v_fma_f64 v[4:5], v[13:14], v[6:7], v[8:9]
	v_fma_f64 v[6:7], -v[13:14], v[6:7], v[0:1]
	v_dual_mov_b32 v8, v66 :: v_dual_mov_b32 v9, v67
                                        ; implicit-def: $vgpr0_vgpr1
.LBB0_15:
	s_and_not1_saveexec_b32 s0, s3
	s_cbranch_execz .LBB0_17
; %bb.16:
	s_waitcnt lgkmcnt(0)
	v_add_f64 v[4:5], v[0:1], v[2:3]
	v_add_f64 v[6:7], v[0:1], -v[2:3]
	s_mov_b32 s4, 0
	v_mov_b32_e32 v2, 0
	s_mov_b32 s5, s4
	s_delay_alu instid0(SALU_CYCLE_1)
	v_dual_mov_b32 v0, s4 :: v_dual_mov_b32 v1, s5
	v_mov_b32_e32 v8, 0
	v_mov_b32_e32 v9, 0
	ds_store_b64 v70, v[0:1] offset:8
	ds_store_b64 v10, v[0:1] offset:9224
	ds_load_b64 v[0:1], v2 offset:4616
	s_waitcnt lgkmcnt(0)
	v_xor_b32_e32 v1, 0x80000000, v1
	ds_store_b64 v2, v[0:1] offset:4616
.LBB0_17:
	s_or_b32 exec_lo, exec_lo, s0
	s_waitcnt lgkmcnt(0)
	v_lshlrev_b64 v[0:1], 4, v[8:9]
	s_delay_alu instid0(VALU_DEP_1) | instskip(NEXT) | instid1(VALU_DEP_1)
	v_add_co_u32 v2, s0, s1, v0
	v_add_co_ci_u32_e64 v3, s0, s2, v1, s0
	s_clause 0x1
	global_load_b128 v[11:14], v[2:3], off offset:1536
	global_load_b128 v[15:18], v[2:3], off offset:3072
	ds_store_b64 v70, v[4:5]
	ds_store_b64 v10, v[6:7] offset:9216
	ds_load_b128 v[2:5], v70 offset:1536
	ds_load_b128 v[6:9], v10 offset:7680
	s_waitcnt lgkmcnt(0)
	v_add_f64 v[19:20], v[2:3], -v[6:7]
	v_add_f64 v[21:22], v[4:5], v[8:9]
	v_add_f64 v[4:5], v[4:5], -v[8:9]
	v_add_f64 v[2:3], v[2:3], v[6:7]
	s_delay_alu instid0(VALU_DEP_4) | instskip(NEXT) | instid1(VALU_DEP_4)
	v_mul_f64 v[8:9], v[19:20], 0.5
	v_mul_f64 v[19:20], v[21:22], 0.5
	s_delay_alu instid0(VALU_DEP_4) | instskip(SKIP_1) | instid1(VALU_DEP_3)
	v_mul_f64 v[4:5], v[4:5], 0.5
	s_waitcnt vmcnt(1)
	v_mul_f64 v[6:7], v[8:9], v[13:14]
	s_delay_alu instid0(VALU_DEP_2) | instskip(SKIP_1) | instid1(VALU_DEP_3)
	v_fma_f64 v[21:22], v[19:20], v[13:14], v[4:5]
	v_fma_f64 v[4:5], v[19:20], v[13:14], -v[4:5]
	v_fma_f64 v[13:14], v[2:3], 0.5, v[6:7]
	v_fma_f64 v[2:3], v[2:3], 0.5, -v[6:7]
	s_delay_alu instid0(VALU_DEP_4) | instskip(NEXT) | instid1(VALU_DEP_4)
	v_fma_f64 v[6:7], -v[11:12], v[8:9], v[21:22]
	v_fma_f64 v[4:5], -v[11:12], v[8:9], v[4:5]
	s_delay_alu instid0(VALU_DEP_4) | instskip(NEXT) | instid1(VALU_DEP_4)
	v_fma_f64 v[8:9], v[19:20], v[11:12], v[13:14]
	v_fma_f64 v[2:3], -v[19:20], v[11:12], v[2:3]
	ds_store_2addr_b64 v70, v[8:9], v[6:7] offset0:192 offset1:193
	ds_store_b128 v10, v[2:5] offset:7680
	ds_load_b128 v[2:5], v70 offset:3072
	ds_load_b128 v[6:9], v10 offset:6144
	s_waitcnt lgkmcnt(0)
	v_add_f64 v[11:12], v[2:3], -v[6:7]
	v_add_f64 v[13:14], v[4:5], v[8:9]
	v_add_f64 v[4:5], v[4:5], -v[8:9]
	v_add_f64 v[2:3], v[2:3], v[6:7]
	s_delay_alu instid0(VALU_DEP_4) | instskip(NEXT) | instid1(VALU_DEP_4)
	v_mul_f64 v[8:9], v[11:12], 0.5
	v_mul_f64 v[11:12], v[13:14], 0.5
	s_delay_alu instid0(VALU_DEP_4) | instskip(SKIP_1) | instid1(VALU_DEP_3)
	v_mul_f64 v[4:5], v[4:5], 0.5
	s_waitcnt vmcnt(0)
	v_mul_f64 v[6:7], v[8:9], v[17:18]
	s_delay_alu instid0(VALU_DEP_2) | instskip(SKIP_1) | instid1(VALU_DEP_3)
	v_fma_f64 v[13:14], v[11:12], v[17:18], v[4:5]
	v_fma_f64 v[4:5], v[11:12], v[17:18], -v[4:5]
	v_fma_f64 v[17:18], v[2:3], 0.5, v[6:7]
	v_fma_f64 v[2:3], v[2:3], 0.5, -v[6:7]
	s_delay_alu instid0(VALU_DEP_4) | instskip(NEXT) | instid1(VALU_DEP_4)
	v_fma_f64 v[6:7], -v[15:16], v[8:9], v[13:14]
	v_fma_f64 v[4:5], -v[15:16], v[8:9], v[4:5]
	s_delay_alu instid0(VALU_DEP_4) | instskip(NEXT) | instid1(VALU_DEP_4)
	v_fma_f64 v[8:9], v[11:12], v[15:16], v[17:18]
	v_fma_f64 v[2:3], -v[11:12], v[15:16], v[2:3]
	v_add_nc_u32_e32 v11, 0x800, v70
	ds_store_2addr_b64 v11, v[8:9], v[6:7] offset0:128 offset1:129
	ds_store_b128 v10, v[2:5] offset:6144
	s_waitcnt lgkmcnt(0)
	s_barrier
	buffer_gl0_inv
	s_and_saveexec_b32 s0, vcc_lo
	s_cbranch_execz .LBB0_20
; %bb.18:
	v_add_co_u32 v2, vcc_lo, s8, v68
	ds_load_b128 v[4:7], v70
	ds_load_b128 v[8:11], v70 offset:1536
	ds_load_b128 v[12:15], v70 offset:3072
	;; [unrolled: 1-line block ×5, first 2 shown]
	v_add_co_ci_u32_e32 v3, vcc_lo, s9, v69, vcc_lo
	v_mov_b32_e32 v65, 0
	v_add_co_u32 v0, vcc_lo, v2, v0
	s_delay_alu instid0(VALU_DEP_3) | instskip(NEXT) | instid1(VALU_DEP_3)
	v_add_co_ci_u32_e32 v1, vcc_lo, v3, v1, vcc_lo
	v_lshlrev_b64 v[28:29], 4, v[64:65]
	s_delay_alu instid0(VALU_DEP_3) | instskip(NEXT) | instid1(VALU_DEP_3)
	v_add_co_u32 v30, vcc_lo, 0x1000, v0
	v_add_co_ci_u32_e32 v31, vcc_lo, 0, v1, vcc_lo
	s_waitcnt lgkmcnt(5)
	global_store_b128 v[0:1], v[4:7], off
	s_waitcnt lgkmcnt(4)
	global_store_b128 v[0:1], v[8:11], off offset:1536
	v_add_co_u32 v28, vcc_lo, v2, v28
	v_add_co_ci_u32_e32 v29, vcc_lo, v3, v29, vcc_lo
	v_cmp_eq_u32_e32 vcc_lo, 0x5f, v66
	s_waitcnt lgkmcnt(3)
	global_store_b128 v[0:1], v[12:15], off offset:3072
	s_waitcnt lgkmcnt(2)
	global_store_b128 v[30:31], v[16:19], off offset:512
	s_waitcnt lgkmcnt(1)
	global_store_b128 v[28:29], v[20:23], off
	s_waitcnt lgkmcnt(0)
	global_store_b128 v[30:31], v[24:27], off offset:3584
	s_and_b32 exec_lo, exec_lo, vcc_lo
	s_cbranch_execz .LBB0_20
; %bb.19:
	ds_load_b128 v[4:7], v65 offset:9216
	v_add_co_u32 v0, vcc_lo, 0x2000, v2
	v_add_co_ci_u32_e32 v1, vcc_lo, 0, v3, vcc_lo
	s_waitcnt lgkmcnt(0)
	global_store_b128 v[0:1], v[4:7], off offset:1024
.LBB0_20:
	s_nop 0
	s_sendmsg sendmsg(MSG_DEALLOC_VGPRS)
	s_endpgm
	.section	.rodata,"a",@progbits
	.p2align	6, 0x0
	.amdhsa_kernel fft_rtc_fwd_len576_factors_16_6_6_wgs_96_tpt_96_halfLds_dp_ip_CI_unitstride_sbrr_R2C_dirReg
		.amdhsa_group_segment_fixed_size 0
		.amdhsa_private_segment_fixed_size 0
		.amdhsa_kernarg_size 88
		.amdhsa_user_sgpr_count 15
		.amdhsa_user_sgpr_dispatch_ptr 0
		.amdhsa_user_sgpr_queue_ptr 0
		.amdhsa_user_sgpr_kernarg_segment_ptr 1
		.amdhsa_user_sgpr_dispatch_id 0
		.amdhsa_user_sgpr_private_segment_size 0
		.amdhsa_wavefront_size32 1
		.amdhsa_uses_dynamic_stack 0
		.amdhsa_enable_private_segment 0
		.amdhsa_system_sgpr_workgroup_id_x 1
		.amdhsa_system_sgpr_workgroup_id_y 0
		.amdhsa_system_sgpr_workgroup_id_z 0
		.amdhsa_system_sgpr_workgroup_info 0
		.amdhsa_system_vgpr_workitem_id 0
		.amdhsa_next_free_vgpr 103
		.amdhsa_next_free_sgpr 21
		.amdhsa_reserve_vcc 1
		.amdhsa_float_round_mode_32 0
		.amdhsa_float_round_mode_16_64 0
		.amdhsa_float_denorm_mode_32 3
		.amdhsa_float_denorm_mode_16_64 3
		.amdhsa_dx10_clamp 1
		.amdhsa_ieee_mode 1
		.amdhsa_fp16_overflow 0
		.amdhsa_workgroup_processor_mode 1
		.amdhsa_memory_ordered 1
		.amdhsa_forward_progress 0
		.amdhsa_shared_vgpr_count 0
		.amdhsa_exception_fp_ieee_invalid_op 0
		.amdhsa_exception_fp_denorm_src 0
		.amdhsa_exception_fp_ieee_div_zero 0
		.amdhsa_exception_fp_ieee_overflow 0
		.amdhsa_exception_fp_ieee_underflow 0
		.amdhsa_exception_fp_ieee_inexact 0
		.amdhsa_exception_int_div_zero 0
	.end_amdhsa_kernel
	.text
.Lfunc_end0:
	.size	fft_rtc_fwd_len576_factors_16_6_6_wgs_96_tpt_96_halfLds_dp_ip_CI_unitstride_sbrr_R2C_dirReg, .Lfunc_end0-fft_rtc_fwd_len576_factors_16_6_6_wgs_96_tpt_96_halfLds_dp_ip_CI_unitstride_sbrr_R2C_dirReg
                                        ; -- End function
	.section	.AMDGPU.csdata,"",@progbits
; Kernel info:
; codeLenInByte = 5860
; NumSgprs: 23
; NumVgprs: 103
; ScratchSize: 0
; MemoryBound: 0
; FloatMode: 240
; IeeeMode: 1
; LDSByteSize: 0 bytes/workgroup (compile time only)
; SGPRBlocks: 2
; VGPRBlocks: 12
; NumSGPRsForWavesPerEU: 23
; NumVGPRsForWavesPerEU: 103
; Occupancy: 12
; WaveLimiterHint : 1
; COMPUTE_PGM_RSRC2:SCRATCH_EN: 0
; COMPUTE_PGM_RSRC2:USER_SGPR: 15
; COMPUTE_PGM_RSRC2:TRAP_HANDLER: 0
; COMPUTE_PGM_RSRC2:TGID_X_EN: 1
; COMPUTE_PGM_RSRC2:TGID_Y_EN: 0
; COMPUTE_PGM_RSRC2:TGID_Z_EN: 0
; COMPUTE_PGM_RSRC2:TIDIG_COMP_CNT: 0
	.text
	.p2alignl 7, 3214868480
	.fill 96, 4, 3214868480
	.type	__hip_cuid_653723f4f9a3e2a5,@object ; @__hip_cuid_653723f4f9a3e2a5
	.section	.bss,"aw",@nobits
	.globl	__hip_cuid_653723f4f9a3e2a5
__hip_cuid_653723f4f9a3e2a5:
	.byte	0                               ; 0x0
	.size	__hip_cuid_653723f4f9a3e2a5, 1

	.ident	"AMD clang version 19.0.0git (https://github.com/RadeonOpenCompute/llvm-project roc-6.4.0 25133 c7fe45cf4b819c5991fe208aaa96edf142730f1d)"
	.section	".note.GNU-stack","",@progbits
	.addrsig
	.addrsig_sym __hip_cuid_653723f4f9a3e2a5
	.amdgpu_metadata
---
amdhsa.kernels:
  - .args:
      - .actual_access:  read_only
        .address_space:  global
        .offset:         0
        .size:           8
        .value_kind:     global_buffer
      - .offset:         8
        .size:           8
        .value_kind:     by_value
      - .actual_access:  read_only
        .address_space:  global
        .offset:         16
        .size:           8
        .value_kind:     global_buffer
      - .actual_access:  read_only
        .address_space:  global
        .offset:         24
        .size:           8
        .value_kind:     global_buffer
      - .offset:         32
        .size:           8
        .value_kind:     by_value
      - .actual_access:  read_only
        .address_space:  global
        .offset:         40
        .size:           8
        .value_kind:     global_buffer
      - .actual_access:  read_only
        .address_space:  global
        .offset:         48
        .size:           8
        .value_kind:     global_buffer
      - .offset:         56
        .size:           4
        .value_kind:     by_value
      - .actual_access:  read_only
        .address_space:  global
        .offset:         64
        .size:           8
        .value_kind:     global_buffer
      - .actual_access:  read_only
        .address_space:  global
        .offset:         72
        .size:           8
        .value_kind:     global_buffer
      - .address_space:  global
        .offset:         80
        .size:           8
        .value_kind:     global_buffer
    .group_segment_fixed_size: 0
    .kernarg_segment_align: 8
    .kernarg_segment_size: 88
    .language:       OpenCL C
    .language_version:
      - 2
      - 0
    .max_flat_workgroup_size: 96
    .name:           fft_rtc_fwd_len576_factors_16_6_6_wgs_96_tpt_96_halfLds_dp_ip_CI_unitstride_sbrr_R2C_dirReg
    .private_segment_fixed_size: 0
    .sgpr_count:     23
    .sgpr_spill_count: 0
    .symbol:         fft_rtc_fwd_len576_factors_16_6_6_wgs_96_tpt_96_halfLds_dp_ip_CI_unitstride_sbrr_R2C_dirReg.kd
    .uniform_work_group_size: 1
    .uses_dynamic_stack: false
    .vgpr_count:     103
    .vgpr_spill_count: 0
    .wavefront_size: 32
    .workgroup_processor_mode: 1
amdhsa.target:   amdgcn-amd-amdhsa--gfx1100
amdhsa.version:
  - 1
  - 2
...

	.end_amdgpu_metadata
